;; amdgpu-corpus repo=ROCm/rocFFT kind=compiled arch=gfx1030 opt=O3
	.text
	.amdgcn_target "amdgcn-amd-amdhsa--gfx1030"
	.amdhsa_code_object_version 6
	.protected	fft_rtc_fwd_len1232_factors_2_2_2_2_11_7_wgs_176_tpt_176_halfLds_sp_ip_CI_unitstride_sbrr_R2C_dirReg ; -- Begin function fft_rtc_fwd_len1232_factors_2_2_2_2_11_7_wgs_176_tpt_176_halfLds_sp_ip_CI_unitstride_sbrr_R2C_dirReg
	.globl	fft_rtc_fwd_len1232_factors_2_2_2_2_11_7_wgs_176_tpt_176_halfLds_sp_ip_CI_unitstride_sbrr_R2C_dirReg
	.p2align	8
	.type	fft_rtc_fwd_len1232_factors_2_2_2_2_11_7_wgs_176_tpt_176_halfLds_sp_ip_CI_unitstride_sbrr_R2C_dirReg,@function
fft_rtc_fwd_len1232_factors_2_2_2_2_11_7_wgs_176_tpt_176_halfLds_sp_ip_CI_unitstride_sbrr_R2C_dirReg: ; @fft_rtc_fwd_len1232_factors_2_2_2_2_11_7_wgs_176_tpt_176_halfLds_sp_ip_CI_unitstride_sbrr_R2C_dirReg
; %bb.0:
	s_clause 0x2
	s_load_dwordx4 s[8:11], s[4:5], 0x0
	s_load_dwordx2 s[2:3], s[4:5], 0x50
	s_load_dwordx2 s[12:13], s[4:5], 0x18
	v_mul_u32_u24_e32 v1, 0x175, v0
	v_mov_b32_e32 v3, 0
	v_add_nc_u32_sdwa v5, s6, v1 dst_sel:DWORD dst_unused:UNUSED_PAD src0_sel:DWORD src1_sel:WORD_1
	v_mov_b32_e32 v1, 0
	v_mov_b32_e32 v6, v3
	v_mov_b32_e32 v2, 0
	s_waitcnt lgkmcnt(0)
	v_cmp_lt_u64_e64 s0, s[10:11], 2
	s_and_b32 vcc_lo, exec_lo, s0
	s_cbranch_vccnz .LBB0_8
; %bb.1:
	s_load_dwordx2 s[0:1], s[4:5], 0x10
	v_mov_b32_e32 v1, 0
	s_add_u32 s6, s12, 8
	v_mov_b32_e32 v2, 0
	s_addc_u32 s7, s13, 0
	s_mov_b64 s[16:17], 1
	s_waitcnt lgkmcnt(0)
	s_add_u32 s14, s0, 8
	s_addc_u32 s15, s1, 0
.LBB0_2:                                ; =>This Inner Loop Header: Depth=1
	s_load_dwordx2 s[18:19], s[14:15], 0x0
                                        ; implicit-def: $vgpr7_vgpr8
	s_mov_b32 s0, exec_lo
	s_waitcnt lgkmcnt(0)
	v_or_b32_e32 v4, s19, v6
	v_cmpx_ne_u64_e32 0, v[3:4]
	s_xor_b32 s1, exec_lo, s0
	s_cbranch_execz .LBB0_4
; %bb.3:                                ;   in Loop: Header=BB0_2 Depth=1
	v_cvt_f32_u32_e32 v4, s18
	v_cvt_f32_u32_e32 v7, s19
	s_sub_u32 s0, 0, s18
	s_subb_u32 s20, 0, s19
	v_fmac_f32_e32 v4, 0x4f800000, v7
	v_rcp_f32_e32 v4, v4
	v_mul_f32_e32 v4, 0x5f7ffffc, v4
	v_mul_f32_e32 v7, 0x2f800000, v4
	v_trunc_f32_e32 v7, v7
	v_fmac_f32_e32 v4, 0xcf800000, v7
	v_cvt_u32_f32_e32 v7, v7
	v_cvt_u32_f32_e32 v4, v4
	v_mul_lo_u32 v8, s0, v7
	v_mul_hi_u32 v9, s0, v4
	v_mul_lo_u32 v10, s20, v4
	v_add_nc_u32_e32 v8, v9, v8
	v_mul_lo_u32 v9, s0, v4
	v_add_nc_u32_e32 v8, v8, v10
	v_mul_hi_u32 v10, v4, v9
	v_mul_lo_u32 v11, v4, v8
	v_mul_hi_u32 v12, v4, v8
	v_mul_hi_u32 v13, v7, v9
	v_mul_lo_u32 v9, v7, v9
	v_mul_hi_u32 v14, v7, v8
	v_mul_lo_u32 v8, v7, v8
	v_add_co_u32 v10, vcc_lo, v10, v11
	v_add_co_ci_u32_e32 v11, vcc_lo, 0, v12, vcc_lo
	v_add_co_u32 v9, vcc_lo, v10, v9
	v_add_co_ci_u32_e32 v9, vcc_lo, v11, v13, vcc_lo
	v_add_co_ci_u32_e32 v10, vcc_lo, 0, v14, vcc_lo
	v_add_co_u32 v8, vcc_lo, v9, v8
	v_add_co_ci_u32_e32 v9, vcc_lo, 0, v10, vcc_lo
	v_add_co_u32 v4, vcc_lo, v4, v8
	v_add_co_ci_u32_e32 v7, vcc_lo, v7, v9, vcc_lo
	v_mul_hi_u32 v8, s0, v4
	v_mul_lo_u32 v10, s20, v4
	v_mul_lo_u32 v9, s0, v7
	v_add_nc_u32_e32 v8, v8, v9
	v_mul_lo_u32 v9, s0, v4
	v_add_nc_u32_e32 v8, v8, v10
	v_mul_hi_u32 v10, v4, v9
	v_mul_lo_u32 v11, v4, v8
	v_mul_hi_u32 v12, v4, v8
	v_mul_hi_u32 v13, v7, v9
	v_mul_lo_u32 v9, v7, v9
	v_mul_hi_u32 v14, v7, v8
	v_mul_lo_u32 v8, v7, v8
	v_add_co_u32 v10, vcc_lo, v10, v11
	v_add_co_ci_u32_e32 v11, vcc_lo, 0, v12, vcc_lo
	v_add_co_u32 v9, vcc_lo, v10, v9
	v_add_co_ci_u32_e32 v9, vcc_lo, v11, v13, vcc_lo
	v_add_co_ci_u32_e32 v10, vcc_lo, 0, v14, vcc_lo
	v_add_co_u32 v8, vcc_lo, v9, v8
	v_add_co_ci_u32_e32 v9, vcc_lo, 0, v10, vcc_lo
	v_add_co_u32 v4, vcc_lo, v4, v8
	v_add_co_ci_u32_e32 v11, vcc_lo, v7, v9, vcc_lo
	v_mul_hi_u32 v13, v5, v4
	v_mad_u64_u32 v[9:10], null, v6, v4, 0
	v_mad_u64_u32 v[7:8], null, v5, v11, 0
	;; [unrolled: 1-line block ×3, first 2 shown]
	v_add_co_u32 v4, vcc_lo, v13, v7
	v_add_co_ci_u32_e32 v7, vcc_lo, 0, v8, vcc_lo
	v_add_co_u32 v4, vcc_lo, v4, v9
	v_add_co_ci_u32_e32 v4, vcc_lo, v7, v10, vcc_lo
	v_add_co_ci_u32_e32 v7, vcc_lo, 0, v12, vcc_lo
	v_add_co_u32 v4, vcc_lo, v4, v11
	v_add_co_ci_u32_e32 v9, vcc_lo, 0, v7, vcc_lo
	v_mul_lo_u32 v10, s19, v4
	v_mad_u64_u32 v[7:8], null, s18, v4, 0
	v_mul_lo_u32 v11, s18, v9
	v_sub_co_u32 v7, vcc_lo, v5, v7
	v_add3_u32 v8, v8, v11, v10
	v_sub_nc_u32_e32 v10, v6, v8
	v_subrev_co_ci_u32_e64 v10, s0, s19, v10, vcc_lo
	v_add_co_u32 v11, s0, v4, 2
	v_add_co_ci_u32_e64 v12, s0, 0, v9, s0
	v_sub_co_u32 v13, s0, v7, s18
	v_sub_co_ci_u32_e32 v8, vcc_lo, v6, v8, vcc_lo
	v_subrev_co_ci_u32_e64 v10, s0, 0, v10, s0
	v_cmp_le_u32_e32 vcc_lo, s18, v13
	v_cmp_eq_u32_e64 s0, s19, v8
	v_cndmask_b32_e64 v13, 0, -1, vcc_lo
	v_cmp_le_u32_e32 vcc_lo, s19, v10
	v_cndmask_b32_e64 v14, 0, -1, vcc_lo
	v_cmp_le_u32_e32 vcc_lo, s18, v7
	;; [unrolled: 2-line block ×3, first 2 shown]
	v_cndmask_b32_e64 v15, 0, -1, vcc_lo
	v_cmp_eq_u32_e32 vcc_lo, s19, v10
	v_cndmask_b32_e64 v7, v15, v7, s0
	v_cndmask_b32_e32 v10, v14, v13, vcc_lo
	v_add_co_u32 v13, vcc_lo, v4, 1
	v_add_co_ci_u32_e32 v14, vcc_lo, 0, v9, vcc_lo
	v_cmp_ne_u32_e32 vcc_lo, 0, v10
	v_cndmask_b32_e32 v8, v14, v12, vcc_lo
	v_cndmask_b32_e32 v10, v13, v11, vcc_lo
	v_cmp_ne_u32_e32 vcc_lo, 0, v7
	v_cndmask_b32_e32 v8, v9, v8, vcc_lo
	v_cndmask_b32_e32 v7, v4, v10, vcc_lo
.LBB0_4:                                ;   in Loop: Header=BB0_2 Depth=1
	s_andn2_saveexec_b32 s0, s1
	s_cbranch_execz .LBB0_6
; %bb.5:                                ;   in Loop: Header=BB0_2 Depth=1
	v_cvt_f32_u32_e32 v4, s18
	s_sub_i32 s1, 0, s18
	v_rcp_iflag_f32_e32 v4, v4
	v_mul_f32_e32 v4, 0x4f7ffffe, v4
	v_cvt_u32_f32_e32 v4, v4
	v_mul_lo_u32 v7, s1, v4
	v_mul_hi_u32 v7, v4, v7
	v_add_nc_u32_e32 v4, v4, v7
	v_mul_hi_u32 v4, v5, v4
	v_mul_lo_u32 v7, v4, s18
	v_add_nc_u32_e32 v8, 1, v4
	v_sub_nc_u32_e32 v7, v5, v7
	v_subrev_nc_u32_e32 v9, s18, v7
	v_cmp_le_u32_e32 vcc_lo, s18, v7
	v_cndmask_b32_e32 v7, v7, v9, vcc_lo
	v_cndmask_b32_e32 v4, v4, v8, vcc_lo
	v_cmp_le_u32_e32 vcc_lo, s18, v7
	v_add_nc_u32_e32 v8, 1, v4
	v_cndmask_b32_e32 v7, v4, v8, vcc_lo
	v_mov_b32_e32 v8, v3
.LBB0_6:                                ;   in Loop: Header=BB0_2 Depth=1
	s_or_b32 exec_lo, exec_lo, s0
	s_load_dwordx2 s[0:1], s[6:7], 0x0
	v_mul_lo_u32 v4, v8, s18
	v_mul_lo_u32 v11, v7, s19
	v_mad_u64_u32 v[9:10], null, v7, s18, 0
	s_add_u32 s16, s16, 1
	s_addc_u32 s17, s17, 0
	s_add_u32 s6, s6, 8
	s_addc_u32 s7, s7, 0
	;; [unrolled: 2-line block ×3, first 2 shown]
	v_add3_u32 v4, v10, v11, v4
	v_sub_co_u32 v5, vcc_lo, v5, v9
	v_sub_co_ci_u32_e32 v4, vcc_lo, v6, v4, vcc_lo
	s_waitcnt lgkmcnt(0)
	v_mul_lo_u32 v6, s1, v5
	v_mul_lo_u32 v4, s0, v4
	v_mad_u64_u32 v[1:2], null, s0, v5, v[1:2]
	v_cmp_ge_u64_e64 s0, s[16:17], s[10:11]
	s_and_b32 vcc_lo, exec_lo, s0
	v_add3_u32 v2, v6, v2, v4
	s_cbranch_vccnz .LBB0_9
; %bb.7:                                ;   in Loop: Header=BB0_2 Depth=1
	v_mov_b32_e32 v5, v7
	v_mov_b32_e32 v6, v8
	s_branch .LBB0_2
.LBB0_8:
	v_mov_b32_e32 v8, v6
	v_mov_b32_e32 v7, v5
.LBB0_9:
	s_lshl_b64 s[0:1], s[10:11], 3
	v_mul_hi_u32 v3, 0x1745d18, v0
	s_add_u32 s0, s12, s0
	s_addc_u32 s1, s13, s1
	s_load_dwordx2 s[4:5], s[4:5], 0x20
	s_load_dwordx2 s[0:1], s[0:1], 0x0
	v_mul_u32_u24_e32 v3, 0xb0, v3
	v_sub_nc_u32_e32 v40, v0, v3
	v_add_nc_u32_e32 v45, 0xb0, v40
	v_add_nc_u32_e32 v47, 0x160, v40
	;; [unrolled: 1-line block ×3, first 2 shown]
	s_waitcnt lgkmcnt(0)
	v_cmp_gt_u64_e32 vcc_lo, s[4:5], v[7:8]
	v_mul_lo_u32 v3, s0, v8
	v_mul_lo_u32 v4, s1, v7
	v_mad_u64_u32 v[0:1], null, s0, v7, v[1:2]
	v_cmp_le_u64_e64 s0, s[4:5], v[7:8]
	v_add3_u32 v1, v4, v1, v3
	s_and_saveexec_b32 s1, s0
	s_xor_b32 s0, exec_lo, s1
; %bb.10:
	v_add_nc_u32_e32 v45, 0xb0, v40
	v_add_nc_u32_e32 v47, 0x160, v40
	;; [unrolled: 1-line block ×3, first 2 shown]
; %bb.11:
	s_or_saveexec_b32 s1, s0
	v_lshlrev_b64 v[42:43], 3, v[0:1]
	s_xor_b32 exec_lo, exec_lo, s1
	s_cbranch_execz .LBB0_13
; %bb.12:
	v_mov_b32_e32 v41, 0
	v_add_co_u32 v2, s0, s2, v42
	v_add_co_ci_u32_e64 v3, s0, s3, v43, s0
	v_lshlrev_b64 v[0:1], 3, v[40:41]
	v_lshl_add_u32 v14, v40, 3, 0
	v_add_nc_u32_e32 v15, 0xa00, v14
	v_add_co_u32 v0, s0, v2, v0
	v_add_co_ci_u32_e64 v1, s0, v3, v1, s0
	v_add_nc_u32_e32 v16, 0x1400, v14
	v_add_co_u32 v2, s0, 0x800, v0
	v_add_co_ci_u32_e64 v3, s0, 0, v1, s0
	v_add_co_u32 v4, s0, 0x1000, v0
	v_add_co_ci_u32_e64 v5, s0, 0, v1, s0
	v_add_co_u32 v6, s0, 0x1800, v0
	v_add_co_ci_u32_e64 v7, s0, 0, v1, s0
	v_add_co_u32 v8, s0, 0x2000, v0
	v_add_co_ci_u32_e64 v9, s0, 0, v1, s0
	s_clause 0x6
	global_load_dwordx2 v[10:11], v[0:1], off
	global_load_dwordx2 v[0:1], v[0:1], off offset:1408
	global_load_dwordx2 v[2:3], v[2:3], off offset:768
	;; [unrolled: 1-line block ×6, first 2 shown]
	s_waitcnt vmcnt(5)
	ds_write2_b64 v14, v[10:11], v[0:1] offset1:176
	s_waitcnt vmcnt(3)
	ds_write2_b64 v15, v[2:3], v[12:13] offset0:32 offset1:208
	s_waitcnt vmcnt(1)
	ds_write2_b64 v16, v[4:5], v[6:7] offset0:64 offset1:240
	s_waitcnt vmcnt(0)
	ds_write_b64 v14, v[8:9] offset:8448
.LBB0_13:
	s_or_b32 exec_lo, exec_lo, s1
	v_lshlrev_b32_e32 v41, 3, v40
	s_waitcnt lgkmcnt(0)
	s_barrier
	buffer_gl0_inv
	v_lshl_add_u32 v16, v45, 4, 0
	v_add_nc_u32_e32 v50, 0, v41
	v_lshl_add_u32 v17, v47, 4, 0
	v_cmp_lt_u32_e64 s1, 0x57, v40
	v_cmp_gt_u32_e64 s0, 0x58, v40
	v_add_nc_u32_e32 v0, 0x1200, v50
	v_add_nc_u32_e32 v9, 0xa00, v50
	;; [unrolled: 1-line block ×3, first 2 shown]
	ds_read2_b64 v[1:4], v50 offset1:176
	v_add_nc_u32_e32 v15, v50, v41
	ds_read2_b64 v[5:8], v0 offset0:40 offset1:216
	ds_read2_b64 v[9:12], v9 offset0:32 offset1:208
	;; [unrolled: 1-line block ×3, first 2 shown]
	s_waitcnt lgkmcnt(0)
	s_barrier
	buffer_gl0_inv
	v_sub_f32_e32 v13, v1, v5
	v_sub_f32_e32 v14, v2, v6
	;; [unrolled: 1-line block ×8, first 2 shown]
	v_fma_f32 v1, v1, 2.0, -v13
	v_fma_f32 v2, v2, 2.0, -v14
	;; [unrolled: 1-line block ×8, first 2 shown]
	ds_write2_b64 v15, v[1:2], v[13:14] offset1:1
	ds_write2_b64 v16, v[20:21], v[22:23] offset1:1
	;; [unrolled: 1-line block ×3, first 2 shown]
	s_and_saveexec_b32 s4, s0
	s_cbranch_execz .LBB0_15
; %bb.14:
	v_lshl_add_u32 v1, v44, 4, 0
	ds_write2_b64 v1, v[4:5], v[6:7] offset1:1
.LBB0_15:
	s_or_b32 exec_lo, exec_lo, s4
	v_lshlrev_b32_e32 v20, 3, v47
	v_lshlrev_b32_e32 v22, 3, v45
	s_waitcnt lgkmcnt(0)
	s_barrier
	buffer_gl0_inv
	v_sub_nc_u32_e32 v8, v17, v20
	v_sub_nc_u32_e32 v12, v16, v22
	ds_read_b64 v[10:11], v50
	ds_read2_b64 v[0:3], v0 offset0:40 offset1:216
	ds_read_b64 v[8:9], v8
	ds_read_b64 v[12:13], v12
	ds_read_b64 v[14:15], v50 offset:7744
	s_and_saveexec_b32 s4, s1
	s_xor_b32 s4, exec_lo, s4
	s_or_saveexec_b32 s4, s4
	v_lshlrev_b32_e32 v19, 1, v45
	v_lshlrev_b32_e32 v18, 1, v47
	v_lshl_add_u32 v51, v44, 3, 0
	s_xor_b32 exec_lo, exec_lo, s4
	s_cbranch_execz .LBB0_17
; %bb.16:
	ds_read_b64 v[4:5], v51
	ds_read_b64 v[6:7], v50 offset:9152
.LBB0_17:
	s_or_b32 exec_lo, exec_lo, s4
	v_and_b32_e32 v24, 1, v40
	v_sub_nc_u32_e32 v22, 0, v22
	v_sub_nc_u32_e32 v23, 0, v20
	v_lshlrev_b32_e32 v20, 1, v44
	v_lshlrev_b32_e32 v21, 3, v24
	v_and_or_b32 v28, 0x3fc, v19, v24
	v_and_or_b32 v29, 0x7fc, v18, v24
	global_load_dwordx2 v[25:26], v21, s[8:9]
	v_lshlrev_b32_e32 v21, 1, v40
	v_lshl_add_u32 v28, v28, 3, 0
	v_lshl_add_u32 v29, v29, 3, 0
	s_waitcnt vmcnt(0) lgkmcnt(0)
	s_barrier
	v_and_or_b32 v27, 0x1fc, v21, v24
	buffer_gl0_inv
	v_lshl_add_u32 v27, v27, 3, 0
	v_mul_f32_e32 v30, v26, v1
	v_mul_f32_e32 v31, v26, v0
	;; [unrolled: 1-line block ×8, first 2 shown]
	v_fma_f32 v0, v25, v0, -v30
	v_fmac_f32_e32 v31, v25, v1
	v_fma_f32 v2, v25, v2, -v32
	v_fma_f32 v6, v6, v25, -v36
	v_fmac_f32_e32 v26, v7, v25
	v_fmac_f32_e32 v33, v25, v3
	v_fma_f32 v14, v25, v14, -v34
	v_fmac_f32_e32 v35, v25, v15
	v_sub_f32_e32 v0, v10, v0
	v_sub_f32_e32 v1, v11, v31
	;; [unrolled: 1-line block ×8, first 2 shown]
	v_fma_f32 v10, v10, 2.0, -v0
	v_fma_f32 v11, v11, 2.0, -v1
	;; [unrolled: 1-line block ×8, first 2 shown]
	ds_write2_b64 v27, v[10:11], v[0:1] offset1:2
	ds_write2_b64 v28, v[12:13], v[2:3] offset1:2
	;; [unrolled: 1-line block ×3, first 2 shown]
	s_and_saveexec_b32 s4, s0
	s_cbranch_execz .LBB0_19
; %bb.18:
	v_and_or_b32 v0, 0x5fc, v20, v24
	v_lshl_add_u32 v0, v0, 3, 0
	ds_write2_b64 v0, v[4:5], v[6:7] offset1:2
.LBB0_19:
	s_or_b32 exec_lo, exec_lo, s4
	v_add_nc_u32_e32 v0, 0x1200, v50
	v_add_nc_u32_e32 v52, v17, v23
	;; [unrolled: 1-line block ×3, first 2 shown]
	s_waitcnt lgkmcnt(0)
	s_barrier
	buffer_gl0_inv
	ds_read_b64 v[10:11], v50
	ds_read2_b64 v[0:3], v0 offset0:40 offset1:216
	ds_read_b64 v[8:9], v52
	ds_read_b64 v[12:13], v53
	ds_read_b64 v[14:15], v50 offset:7744
	s_and_saveexec_b32 s4, s1
	s_xor_b32 s4, exec_lo, s4
	s_andn2_saveexec_b32 s4, s4
	s_cbranch_execz .LBB0_21
; %bb.20:
	ds_read_b64 v[4:5], v51
	ds_read_b64 v[6:7], v50 offset:9152
.LBB0_21:
	s_or_b32 exec_lo, exec_lo, s4
	v_and_b32_e32 v16, 3, v40
	v_lshlrev_b32_e32 v17, 3, v16
	v_and_or_b32 v24, 0x3f8, v19, v16
	v_and_or_b32 v25, 0x7f8, v18, v16
	global_load_dwordx2 v[22:23], v17, s[8:9] offset:16
	v_and_or_b32 v17, 0x1f8, v21, v16
	v_lshl_add_u32 v24, v24, 3, 0
	v_lshl_add_u32 v25, v25, 3, 0
	s_waitcnt vmcnt(0) lgkmcnt(0)
	s_barrier
	v_lshl_add_u32 v17, v17, 3, 0
	buffer_gl0_inv
	v_mul_f32_e32 v26, v23, v1
	v_mul_f32_e32 v27, v23, v0
	;; [unrolled: 1-line block ×8, first 2 shown]
	v_fma_f32 v0, v22, v0, -v26
	v_fmac_f32_e32 v27, v22, v1
	v_fma_f32 v14, v22, v14, -v30
	v_fmac_f32_e32 v31, v22, v15
	;; [unrolled: 2-line block ×4, first 2 shown]
	v_sub_f32_e32 v0, v10, v0
	v_sub_f32_e32 v1, v11, v27
	;; [unrolled: 1-line block ×8, first 2 shown]
	v_fma_f32 v10, v10, 2.0, -v0
	v_fma_f32 v11, v11, 2.0, -v1
	;; [unrolled: 1-line block ×8, first 2 shown]
	ds_write2_b64 v17, v[10:11], v[0:1] offset1:4
	ds_write2_b64 v24, v[12:13], v[2:3] offset1:4
	;; [unrolled: 1-line block ×3, first 2 shown]
	s_and_saveexec_b32 s4, s0
	s_cbranch_execz .LBB0_23
; %bb.22:
	v_and_or_b32 v0, 0x5f8, v20, v16
	v_lshl_add_u32 v0, v0, 3, 0
	ds_write2_b64 v0, v[8:9], v[6:7] offset1:4
.LBB0_23:
	s_or_b32 exec_lo, exec_lo, s4
	v_add_nc_u32_e32 v0, 0x1200, v50
	s_waitcnt lgkmcnt(0)
	s_barrier
	buffer_gl0_inv
	ds_read_b64 v[4:5], v50
	ds_read2_b64 v[0:3], v0 offset0:40 offset1:216
	ds_read_b64 v[16:17], v52
	ds_read_b64 v[12:13], v53
	ds_read_b64 v[10:11], v50 offset:7744
	s_and_saveexec_b32 s4, s1
	s_xor_b32 s1, exec_lo, s4
	s_andn2_saveexec_b32 s1, s1
	s_cbranch_execz .LBB0_25
; %bb.24:
	ds_read_b64 v[8:9], v51
	ds_read_b64 v[6:7], v50 offset:9152
.LBB0_25:
	s_or_b32 exec_lo, exec_lo, s1
	v_and_b32_e32 v22, 7, v40
	v_lshlrev_b32_e32 v14, 3, v22
	v_and_or_b32 v21, 0x1f0, v21, v22
	v_and_or_b32 v19, 0x3f0, v19, v22
	;; [unrolled: 1-line block ×3, first 2 shown]
	global_load_dwordx2 v[14:15], v14, s[8:9] offset:48
	v_lshl_add_u32 v21, v21, 3, 0
	v_lshl_add_u32 v19, v19, 3, 0
	;; [unrolled: 1-line block ×3, first 2 shown]
	s_waitcnt vmcnt(0) lgkmcnt(0)
	s_barrier
	buffer_gl0_inv
	v_mul_f32_e32 v23, v15, v1
	v_mul_f32_e32 v24, v15, v0
	;; [unrolled: 1-line block ×8, first 2 shown]
	v_fma_f32 v0, v14, v0, -v23
	v_fmac_f32_e32 v24, v14, v1
	v_fma_f32 v1, v14, v2, -v25
	v_fmac_f32_e32 v26, v14, v3
	;; [unrolled: 2-line block ×4, first 2 shown]
	v_sub_f32_e32 v2, v4, v0
	v_sub_f32_e32 v3, v5, v24
	;; [unrolled: 1-line block ×8, first 2 shown]
	v_fma_f32 v0, v4, 2.0, -v2
	v_fma_f32 v1, v5, 2.0, -v3
	v_fma_f32 v12, v12, 2.0, -v14
	v_fma_f32 v13, v13, 2.0, -v15
	v_fma_f32 v4, v16, 2.0, -v6
	v_fma_f32 v5, v17, 2.0, -v7
	v_fma_f32 v8, v8, 2.0, -v10
	v_fma_f32 v9, v9, 2.0, -v11
	ds_write2_b64 v21, v[0:1], v[2:3] offset1:8
	ds_write2_b64 v19, v[12:13], v[14:15] offset1:8
	;; [unrolled: 1-line block ×3, first 2 shown]
	s_and_saveexec_b32 s1, s0
	s_cbranch_execz .LBB0_27
; %bb.26:
	v_and_or_b32 v16, 0x5f0, v20, v22
	v_lshl_add_u32 v16, v16, 3, 0
	ds_write2_b64 v16, v[8:9], v[10:11] offset1:8
.LBB0_27:
	s_or_b32 exec_lo, exec_lo, s1
	v_cmp_gt_u32_e64 s1, 0x70, v40
	s_waitcnt lgkmcnt(0)
	s_barrier
	buffer_gl0_inv
                                        ; implicit-def: $vgpr49
                                        ; implicit-def: $vgpr19
	s_and_saveexec_b32 s4, s1
	s_cbranch_execz .LBB0_29
; %bb.28:
	v_add_nc_u32_e32 v4, 0x400, v50
	v_add_nc_u32_e32 v5, 0xc00, v50
	;; [unrolled: 1-line block ×4, first 2 shown]
	ds_read2_b64 v[0:3], v50 offset1:112
	ds_read2_b64 v[12:15], v4 offset0:96 offset1:208
	ds_read2_b64 v[4:7], v5 offset0:64 offset1:176
	;; [unrolled: 1-line block ×4, first 2 shown]
	ds_read_b64 v[48:49], v50 offset:8960
.LBB0_29:
	s_or_b32 exec_lo, exec_lo, s4
	s_waitcnt lgkmcnt(0)
	s_barrier
	buffer_gl0_inv
	s_and_saveexec_b32 s4, s1
	s_cbranch_execz .LBB0_31
; %bb.30:
	v_and_b32_e32 v46, 15, v40
	v_lshrrev_b32_e32 v54, 4, v40
	v_mul_u32_u24_e32 v20, 10, v46
	v_mul_u32_u24_e32 v54, 0xb0, v54
	v_lshlrev_b32_e32 v20, 3, v20
	v_or_b32_e32 v46, v54, v46
	s_clause 0x4
	global_load_dwordx4 v[32:35], v20, s[8:9] offset:176
	global_load_dwordx4 v[36:39], v20, s[8:9] offset:112
	;; [unrolled: 1-line block ×5, first 2 shown]
	v_lshl_add_u32 v46, v46, 3, 0
	s_waitcnt vmcnt(4)
	v_mul_f32_e32 v54, v48, v35
	s_waitcnt vmcnt(3)
	v_mul_f32_e32 v55, v2, v37
	v_mul_f32_e32 v37, v3, v37
	;; [unrolled: 1-line block ×7, first 2 shown]
	s_waitcnt vmcnt(2)
	v_mul_f32_e32 v58, v16, v27
	s_waitcnt vmcnt(1)
	v_mul_f32_e32 v59, v14, v29
	v_mul_f32_e32 v29, v15, v29
	;; [unrolled: 1-line block ×7, first 2 shown]
	s_waitcnt vmcnt(0)
	v_mul_f32_e32 v62, v8, v23
	v_mul_f32_e32 v63, v6, v21
	v_mul_f32_e32 v21, v7, v21
	v_mul_f32_e32 v23, v9, v23
	v_fmac_f32_e32 v55, v3, v36
	v_fma_f32 v2, v2, v36, -v37
	v_fmac_f32_e32 v54, v49, v34
	v_fma_f32 v34, v48, v34, -v35
	;; [unrolled: 2-line block ×4, first 2 shown]
	v_fmac_f32_e32 v58, v17, v26
	v_fmac_f32_e32 v59, v15, v28
	v_fma_f32 v12, v14, v28, -v29
	v_fma_f32 v13, v16, v26, -v27
	v_fmac_f32_e32 v60, v11, v24
	v_fmac_f32_e32 v61, v5, v30
	v_fma_f32 v4, v4, v30, -v31
	v_fma_f32 v5, v10, v24, -v25
	;; [unrolled: 4-line block ×3, first 2 shown]
	v_add_f32_e32 v8, v55, v54
	v_sub_f32_e32 v9, v2, v34
	v_add_f32_e32 v16, v2, v34
	v_sub_f32_e32 v17, v55, v54
	v_add_f32_e32 v19, v1, v55
	v_add_f32_e32 v2, v0, v2
	;; [unrolled: 1-line block ×3, first 2 shown]
	v_sub_f32_e32 v11, v3, v18
	v_add_f32_e32 v14, v59, v58
	v_sub_f32_e32 v15, v12, v13
	v_add_f32_e32 v20, v61, v60
	v_sub_f32_e32 v21, v4, v5
	v_add_f32_e32 v22, v63, v62
	v_sub_f32_e32 v23, v6, v7
	v_sub_f32_e32 v24, v57, v56
	;; [unrolled: 1-line block ×5, first 2 shown]
	v_mul_f32_e32 v32, 0xbf75a155, v8
	v_mul_f32_e32 v36, 0xbe903f40, v17
	;; [unrolled: 1-line block ×10, first 2 shown]
	v_add_f32_e32 v19, v19, v57
	v_add_f32_e32 v2, v2, v3
	;; [unrolled: 1-line block ×6, first 2 shown]
	v_mul_f32_e32 v33, 0x3f575c64, v10
	v_mul_f32_e32 v35, 0xbf27a4f4, v14
	;; [unrolled: 1-line block ×40, first 2 shown]
	v_fmamk_f32 v97, v9, 0x3e903f40, v32
	v_fmamk_f32 v98, v16, 0xbf75a155, v36
	v_fmac_f32_e32 v32, 0xbe903f40, v9
	v_fma_f32 v9, 0xbf75a155, v16, -v36
	v_fmamk_f32 v36, v8, 0xbf27a4f4, v37
	v_fma_f32 v99, 0xbf27a4f4, v16, -v48
	v_fmamk_f32 v100, v8, 0xbe11bafb, v49
	;; [unrolled: 2-line block ×4, first 2 shown]
	v_fma_f32 v37, 0xbf27a4f4, v8, -v37
	v_fma_f32 v49, 0xbe11bafb, v8, -v49
	;; [unrolled: 1-line block ×5, first 2 shown]
	v_add_f32_e32 v19, v19, v59
	v_add_f32_e32 v2, v2, v12
	v_fmac_f32_e32 v48, 0xbf27a4f4, v16
	v_fmac_f32_e32 v65, 0xbe11bafb, v16
	;; [unrolled: 1-line block ×4, first 2 shown]
	v_fmamk_f32 v16, v11, 0xbf0a6770, v33
	v_fmac_f32_e32 v33, 0x3f0a6770, v11
	v_fmamk_f32 v11, v10, 0xbe11bafb, v38
	v_fmamk_f32 v105, v10, 0xbf75a155, v55
	;; [unrolled: 1-line block ×4, first 2 shown]
	v_fma_f32 v38, 0xbe11bafb, v10, -v38
	v_fma_f32 v55, 0xbf75a155, v10, -v55
	;; [unrolled: 1-line block ×4, first 2 shown]
	v_fmamk_f32 v71, v15, 0x3f4178ce, v35
	v_fmac_f32_e32 v35, 0xbf4178ce, v15
	v_fmamk_f32 v15, v14, 0x3f575c64, v39
	v_fma_f32 v39, 0x3f575c64, v14, -v39
	v_fmamk_f32 v108, v14, 0x3ed4b147, v64
	v_fma_f32 v64, 0x3ed4b147, v14, -v64
	v_fmamk_f32 v109, v14, 0xbf75a155, v68
	v_fma_f32 v68, 0xbf75a155, v14, -v68
	v_fmamk_f32 v110, v14, 0xbe11bafb, v72
	v_fma_f32 v14, 0xbe11bafb, v14, -v72
	v_fmamk_f32 v72, v21, 0xbf68dda4, v73
	v_fmac_f32_e32 v73, 0x3f68dda4, v21
	v_fmamk_f32 v21, v20, 0xbf75a155, v74
	v_fma_f32 v74, 0xbf75a155, v20, -v74
	v_fmamk_f32 v111, v20, 0x3f575c64, v75
	v_fma_f32 v75, 0x3f575c64, v20, -v75
	v_fmamk_f32 v112, v20, 0xbe11bafb, v76
	v_fma_f32 v76, 0xbe11bafb, v20, -v76
	v_fmamk_f32 v113, v20, 0xbf27a4f4, v77
	v_fma_f32 v20, 0xbf27a4f4, v20, -v77
	;; [unrolled: 10-line block ×3, first 2 shown]
	v_fmamk_f32 v82, v25, 0x3f575c64, v3
	v_fma_f32 v3, 0x3f575c64, v25, -v3
	v_fma_f32 v117, 0xbe11bafb, v25, -v57
	v_fmac_f32_e32 v57, 0xbe11bafb, v25
	v_fma_f32 v118, 0xbf75a155, v25, -v83
	v_fmac_f32_e32 v83, 0xbf75a155, v25
	v_fma_f32 v119, 0xbf27a4f4, v25, -v84
	v_fmac_f32_e32 v84, 0xbf27a4f4, v25
	v_fma_f32 v120, 0x3ed4b147, v25, -v24
	v_fmac_f32_e32 v24, 0x3ed4b147, v25
	v_fmamk_f32 v12, v27, 0xbf27a4f4, v85
	v_fma_f32 v25, 0xbf27a4f4, v27, -v85
	v_fma_f32 v59, 0x3f575c64, v27, -v86
	v_fmac_f32_e32 v86, 0x3f575c64, v27
	v_fma_f32 v85, 0x3ed4b147, v27, -v87
	v_fmac_f32_e32 v87, 0x3ed4b147, v27
	v_fma_f32 v121, 0xbf75a155, v27, -v88
	v_fmac_f32_e32 v88, 0xbf75a155, v27
	v_fma_f32 v122, 0xbe11bafb, v27, -v26
	v_fmac_f32_e32 v26, 0xbe11bafb, v27
	;; [unrolled: 10-line block ×4, first 2 shown]
	v_add_f32_e32 v31, v1, v97
	v_add_f32_e32 v97, v0, v98
	;; [unrolled: 1-line block ×114, first 2 shown]
	ds_write2_b64 v46, v[8:9], v[6:7] offset0:32 offset1:48
	ds_write2_b64 v46, v[4:5], v[2:3] offset0:64 offset1:80
	;; [unrolled: 1-line block ×4, first 2 shown]
	ds_write2_b64 v46, v[20:21], v[10:11] offset1:16
	ds_write_b64 v46, v[18:19] offset:1280
.LBB0_31:
	s_or_b32 exec_lo, exec_lo, s4
	v_mul_u32_u24_e32 v0, 6, v40
	s_waitcnt lgkmcnt(0)
	s_barrier
	buffer_gl0_inv
	v_add_nc_u32_e32 v16, 0x1a00, v50
	v_lshlrev_b32_e32 v8, 3, v0
	v_add_nc_u32_e32 v26, 0xa00, v50
	v_add_nc_u32_e32 v27, 0x1400, v50
	s_add_u32 s4, s8, 0x2670
	s_addc_u32 s5, s9, 0
	s_clause 0x2
	global_load_dwordx4 v[0:3], v8, s[8:9] offset:1392
	global_load_dwordx4 v[4:7], v8, s[8:9] offset:1408
	global_load_dwordx4 v[8:11], v8, s[8:9] offset:1424
	ds_read_b64 v[20:21], v53
	ds_read_b64 v[22:23], v52
	;; [unrolled: 1-line block ×3, first 2 shown]
	ds_read2st64_b64 v[12:15], v50 offset1:11
	ds_read2_b64 v[16:19], v16 offset0:48 offset1:224
	s_waitcnt vmcnt(0) lgkmcnt(0)
	s_barrier
	buffer_gl0_inv
	s_mov_b32 s6, exec_lo
	v_mul_f32_e32 v28, v1, v21
	v_mul_f32_e32 v1, v1, v20
	;; [unrolled: 1-line block ×12, first 2 shown]
	v_fma_f32 v20, v0, v20, -v28
	v_fmac_f32_e32 v1, v0, v21
	v_fma_f32 v0, v2, v22, -v29
	v_fmac_f32_e32 v3, v2, v23
	v_fma_f32 v2, v4, v24, -v30
	v_fmac_f32_e32 v5, v4, v25
	v_fma_f32 v4, v6, v14, -v31
	v_fma_f32 v14, v10, v18, -v33
	v_fmac_f32_e32 v11, v10, v19
	v_fmac_f32_e32 v7, v6, v15
	v_fma_f32 v6, v8, v16, -v32
	v_fmac_f32_e32 v9, v8, v17
	v_add_f32_e32 v8, v20, v14
	v_add_f32_e32 v10, v1, v11
	v_sub_f32_e32 v1, v1, v11
	v_add_f32_e32 v11, v0, v6
	v_add_f32_e32 v15, v3, v9
	v_sub_f32_e32 v14, v20, v14
	v_sub_f32_e32 v0, v0, v6
	;; [unrolled: 1-line block ×3, first 2 shown]
	v_add_f32_e32 v6, v2, v4
	v_add_f32_e32 v9, v5, v7
	v_sub_f32_e32 v2, v4, v2
	v_sub_f32_e32 v4, v7, v5
	v_add_f32_e32 v5, v11, v8
	v_add_f32_e32 v7, v15, v10
	v_sub_f32_e32 v16, v11, v8
	v_sub_f32_e32 v17, v15, v10
	;; [unrolled: 1-line block ×6, first 2 shown]
	v_add_f32_e32 v18, v2, v0
	v_add_f32_e32 v19, v4, v3
	v_sub_f32_e32 v20, v2, v0
	v_sub_f32_e32 v21, v4, v3
	;; [unrolled: 1-line block ×3, first 2 shown]
	v_add_f32_e32 v5, v6, v5
	v_add_f32_e32 v6, v9, v7
	v_sub_f32_e32 v3, v3, v1
	v_sub_f32_e32 v2, v14, v2
	;; [unrolled: 1-line block ×3, first 2 shown]
	v_add_f32_e32 v7, v18, v14
	v_add_f32_e32 v9, v19, v1
	v_mul_f32_e32 v8, 0x3f4a47b2, v8
	v_mul_f32_e32 v10, 0x3f4a47b2, v10
	;; [unrolled: 1-line block ×7, first 2 shown]
	v_add_f32_e32 v0, v5, v12
	v_add_f32_e32 v1, v6, v13
	v_mul_f32_e32 v23, 0x3f5ff5aa, v3
	v_fmamk_f32 v11, v11, 0x3d64c772, v8
	v_fmamk_f32 v12, v15, 0x3d64c772, v10
	v_fma_f32 v13, 0x3f3bfb3b, v16, -v14
	v_fma_f32 v14, 0x3f3bfb3b, v17, -v18
	;; [unrolled: 1-line block ×4, first 2 shown]
	v_fmamk_f32 v15, v2, 0x3eae86e6, v19
	v_fmamk_f32 v16, v4, 0x3eae86e6, v20
	v_fma_f32 v17, 0x3f5ff5aa, v22, -v19
	v_fma_f32 v18, 0x3f5ff5aa, v3, -v20
	;; [unrolled: 1-line block ×3, first 2 shown]
	v_fmamk_f32 v2, v5, 0xbf955555, v0
	v_fmamk_f32 v3, v6, 0xbf955555, v1
	v_fma_f32 v20, 0xbeae86e6, v4, -v23
	v_fmac_f32_e32 v15, 0x3ee1c552, v7
	v_fmac_f32_e32 v16, 0x3ee1c552, v9
	v_add_f32_e32 v21, v11, v2
	v_add_f32_e32 v22, v12, v3
	v_fmac_f32_e32 v17, 0x3ee1c552, v7
	v_fmac_f32_e32 v18, 0x3ee1c552, v9
	;; [unrolled: 1-line block ×4, first 2 shown]
	v_add_f32_e32 v9, v13, v2
	v_add_f32_e32 v11, v8, v2
	v_add_f32_e32 v12, v10, v3
	v_add_f32_e32 v10, v14, v3
	v_add_f32_e32 v2, v16, v21
	v_sub_f32_e32 v3, v22, v15
	v_add_f32_e32 v4, v20, v11
	v_sub_f32_e32 v5, v12, v19
	v_sub_f32_e32 v6, v9, v18
	v_add_f32_e32 v7, v17, v10
	v_add_f32_e32 v8, v18, v9
	v_sub_f32_e32 v9, v10, v17
	v_sub_f32_e32 v10, v11, v20
	v_add_f32_e32 v11, v19, v12
	v_sub_f32_e32 v12, v21, v16
	v_add_f32_e32 v13, v15, v22
	ds_write2_b64 v50, v[0:1], v[2:3] offset1:176
	ds_write2_b64 v26, v[4:5], v[6:7] offset0:32 offset1:208
	ds_write2_b64 v27, v[8:9], v[10:11] offset0:64 offset1:240
	ds_write_b64 v50, v[12:13] offset:8448
	s_waitcnt lgkmcnt(0)
	s_barrier
	buffer_gl0_inv
	ds_read_b64 v[0:1], v50
	v_sub_nc_u32_e32 v2, 0, v41
                                        ; implicit-def: $vgpr4
                                        ; implicit-def: $vgpr3
	v_cmpx_ne_u32_e32 0, v40
	s_xor_b32 s6, exec_lo, s6
	s_cbranch_execz .LBB0_33
; %bb.32:
	v_mov_b32_e32 v41, 0
	ds_read_b64 v[6:7], v2 offset:9856
	v_lshlrev_b64 v[3:4], 3, v[40:41]
	v_add_co_u32 v3, s1, s4, v3
	v_add_co_ci_u32_e64 v4, s1, s5, v4, s1
	global_load_dwordx2 v[4:5], v[3:4], off
	s_waitcnt lgkmcnt(0)
	v_sub_f32_e32 v3, v0, v6
	v_add_f32_e32 v8, v7, v1
	v_sub_f32_e32 v1, v1, v7
	v_add_f32_e32 v0, v6, v0
	v_mul_f32_e32 v7, 0.5, v3
	v_mul_f32_e32 v8, 0.5, v8
	;; [unrolled: 1-line block ×3, first 2 shown]
	s_waitcnt vmcnt(0)
	v_mul_f32_e32 v6, v5, v7
	v_fma_f32 v9, v8, v5, v1
	v_fma_f32 v1, v8, v5, -v1
	v_fma_f32 v3, 0.5, v0, v6
	v_fma_f32 v0, v0, 0.5, -v6
	v_fma_f32 v5, -v4, v7, v9
	v_fma_f32 v1, -v4, v7, v1
	ds_write_b32 v50, v5 offset:4
	ds_write_b32 v2, v1 offset:9860
	v_fmac_f32_e32 v3, v4, v8
	v_fma_f32 v4, -v4, v8, v0
                                        ; implicit-def: $vgpr0_vgpr1
.LBB0_33:
	s_andn2_saveexec_b32 s1, s6
	s_cbranch_execz .LBB0_35
; %bb.34:
	v_mov_b32_e32 v5, 0
	s_waitcnt lgkmcnt(0)
	v_add_f32_e32 v3, v0, v1
	ds_write_b32 v50, v5 offset:4
	ds_write_b32 v2, v5 offset:9860
	ds_read_b32 v4, v5 offset:4932
	s_waitcnt lgkmcnt(0)
	v_xor_b32_e32 v6, 0x80000000, v4
	v_sub_f32_e32 v4, v0, v1
	ds_write_b32 v5, v6 offset:4932
.LBB0_35:
	s_or_b32 exec_lo, exec_lo, s1
	v_mov_b32_e32 v46, 0
	s_waitcnt lgkmcnt(0)
	v_lshlrev_b64 v[0:1], 3, v[45:46]
	v_mov_b32_e32 v48, v46
	v_lshlrev_b64 v[5:6], 3, v[47:48]
	v_add_co_u32 v0, s1, s4, v0
	v_add_co_ci_u32_e64 v1, s1, s5, v1, s1
	v_add_co_u32 v5, s1, s4, v5
	global_load_dwordx2 v[0:1], v[0:1], off
	v_add_co_ci_u32_e64 v6, s1, s5, v6, s1
	global_load_dwordx2 v[5:6], v[5:6], off
	ds_write_b32 v50, v3
	ds_write_b32 v2, v4 offset:9856
	ds_read_b64 v[3:4], v53
	ds_read_b64 v[7:8], v2 offset:8448
	s_waitcnt lgkmcnt(0)
	v_sub_f32_e32 v9, v3, v7
	v_add_f32_e32 v10, v4, v8
	v_sub_f32_e32 v4, v4, v8
	v_add_f32_e32 v7, v3, v7
	v_mul_f32_e32 v8, 0.5, v9
	v_mul_f32_e32 v9, 0.5, v10
	;; [unrolled: 1-line block ×3, first 2 shown]
	s_waitcnt vmcnt(1)
	v_mul_f32_e32 v10, v1, v8
	v_fma_f32 v11, v9, v1, v4
	v_fma_f32 v1, v9, v1, -v4
	v_fma_f32 v3, 0.5, v7, v10
	v_fma_f32 v7, v7, 0.5, -v10
	v_fma_f32 v4, -v0, v8, v11
	v_fma_f32 v1, -v0, v8, v1
	v_fmac_f32_e32 v3, v0, v9
	v_fma_f32 v0, -v0, v9, v7
	ds_write_b64 v53, v[3:4]
	ds_write_b64 v2, v[0:1] offset:8448
	ds_read_b64 v[0:1], v52
	ds_read_b64 v[3:4], v2 offset:7040
	s_waitcnt lgkmcnt(0)
	v_sub_f32_e32 v7, v0, v3
	v_add_f32_e32 v8, v1, v4
	v_sub_f32_e32 v1, v1, v4
	v_add_f32_e32 v3, v0, v3
	v_mul_f32_e32 v4, 0.5, v7
	v_mul_f32_e32 v7, 0.5, v8
	;; [unrolled: 1-line block ×3, first 2 shown]
	s_waitcnt vmcnt(0)
	v_mul_f32_e32 v8, v6, v4
	v_fma_f32 v9, v7, v6, v1
	v_fma_f32 v6, v7, v6, -v1
	v_fma_f32 v0, 0.5, v3, v8
	v_fma_f32 v3, v3, 0.5, -v8
	v_fma_f32 v1, -v5, v4, v9
	v_fma_f32 v4, -v5, v4, v6
	v_fmac_f32_e32 v0, v5, v7
	v_fma_f32 v3, -v5, v7, v3
	ds_write_b64 v52, v[0:1]
	ds_write_b64 v2, v[3:4] offset:7040
	s_and_saveexec_b32 s1, s0
	s_cbranch_execz .LBB0_37
; %bb.36:
	v_mov_b32_e32 v45, v46
	v_lshlrev_b64 v[0:1], 3, v[44:45]
	v_add_co_u32 v0, s0, s4, v0
	v_add_co_ci_u32_e64 v1, s0, s5, v1, s0
	global_load_dwordx2 v[0:1], v[0:1], off
	ds_read_b64 v[3:4], v51
	ds_read_b64 v[5:6], v2 offset:5632
	s_waitcnt lgkmcnt(0)
	v_sub_f32_e32 v7, v3, v5
	v_add_f32_e32 v8, v4, v6
	v_sub_f32_e32 v4, v4, v6
	v_add_f32_e32 v5, v3, v5
	v_mul_f32_e32 v6, 0.5, v7
	v_mul_f32_e32 v7, 0.5, v8
	;; [unrolled: 1-line block ×3, first 2 shown]
	s_waitcnt vmcnt(0)
	v_mul_f32_e32 v8, v1, v6
	v_fma_f32 v9, v7, v1, v4
	v_fma_f32 v1, v7, v1, -v4
	v_fma_f32 v3, 0.5, v5, v8
	v_fma_f32 v5, v5, 0.5, -v8
	v_fma_f32 v4, -v0, v6, v9
	v_fma_f32 v1, -v0, v6, v1
	v_fmac_f32_e32 v3, v0, v7
	v_fma_f32 v0, -v0, v7, v5
	ds_write_b64 v51, v[3:4]
	ds_write_b64 v2, v[0:1] offset:5632
.LBB0_37:
	s_or_b32 exec_lo, exec_lo, s1
	s_waitcnt lgkmcnt(0)
	s_barrier
	buffer_gl0_inv
	s_and_saveexec_b32 s0, vcc_lo
	s_cbranch_execz .LBB0_40
; %bb.38:
	v_add_nc_u32_e32 v0, 0xa00, v50
	v_mov_b32_e32 v41, 0
	v_add_nc_u32_e32 v12, 0x1400, v50
	ds_read2_b64 v[2:5], v50 offset1:176
	ds_read2_b64 v[6:9], v0 offset0:32 offset1:208
	v_add_co_u32 v0, vcc_lo, s2, v42
	v_lshlrev_b64 v[10:11], 3, v[40:41]
	v_add_co_ci_u32_e32 v1, vcc_lo, s3, v43, vcc_lo
	ds_read_b64 v[18:19], v50 offset:8448
	v_add_co_u32 v14, vcc_lo, v0, v10
	v_add_co_ci_u32_e32 v15, vcc_lo, v1, v11, vcc_lo
	ds_read2_b64 v[10:13], v12 offset0:64 offset1:240
	v_add_co_u32 v16, vcc_lo, 0x800, v14
	v_add_co_ci_u32_e32 v17, vcc_lo, 0, v15, vcc_lo
	s_waitcnt lgkmcnt(3)
	global_store_dwordx2 v[14:15], v[2:3], off
	global_store_dwordx2 v[14:15], v[4:5], off offset:1408
	s_waitcnt lgkmcnt(2)
	global_store_dwordx2 v[16:17], v[6:7], off offset:768
	v_add_co_u32 v2, vcc_lo, 0x1000, v14
	v_add_co_ci_u32_e32 v3, vcc_lo, 0, v15, vcc_lo
	v_add_co_u32 v4, vcc_lo, 0x1800, v14
	v_add_co_ci_u32_e32 v5, vcc_lo, 0, v15, vcc_lo
	;; [unrolled: 2-line block ×3, first 2 shown]
	v_cmp_eq_u32_e32 vcc_lo, 0xaf, v40
	global_store_dwordx2 v[2:3], v[8:9], off offset:128
	s_waitcnt lgkmcnt(0)
	global_store_dwordx2 v[2:3], v[10:11], off offset:1536
	global_store_dwordx2 v[4:5], v[12:13], off offset:896
	;; [unrolled: 1-line block ×3, first 2 shown]
	s_and_b32 exec_lo, exec_lo, vcc_lo
	s_cbranch_execz .LBB0_40
; %bb.39:
	ds_read_b64 v[2:3], v41 offset:9856
	v_add_co_u32 v0, vcc_lo, 0x2000, v0
	v_add_co_ci_u32_e32 v1, vcc_lo, 0, v1, vcc_lo
	s_waitcnt lgkmcnt(0)
	global_store_dwordx2 v[0:1], v[2:3], off offset:1664
.LBB0_40:
	s_endpgm
	.section	.rodata,"a",@progbits
	.p2align	6, 0x0
	.amdhsa_kernel fft_rtc_fwd_len1232_factors_2_2_2_2_11_7_wgs_176_tpt_176_halfLds_sp_ip_CI_unitstride_sbrr_R2C_dirReg
		.amdhsa_group_segment_fixed_size 0
		.amdhsa_private_segment_fixed_size 0
		.amdhsa_kernarg_size 88
		.amdhsa_user_sgpr_count 6
		.amdhsa_user_sgpr_private_segment_buffer 1
		.amdhsa_user_sgpr_dispatch_ptr 0
		.amdhsa_user_sgpr_queue_ptr 0
		.amdhsa_user_sgpr_kernarg_segment_ptr 1
		.amdhsa_user_sgpr_dispatch_id 0
		.amdhsa_user_sgpr_flat_scratch_init 0
		.amdhsa_user_sgpr_private_segment_size 0
		.amdhsa_wavefront_size32 1
		.amdhsa_uses_dynamic_stack 0
		.amdhsa_system_sgpr_private_segment_wavefront_offset 0
		.amdhsa_system_sgpr_workgroup_id_x 1
		.amdhsa_system_sgpr_workgroup_id_y 0
		.amdhsa_system_sgpr_workgroup_id_z 0
		.amdhsa_system_sgpr_workgroup_info 0
		.amdhsa_system_vgpr_workitem_id 0
		.amdhsa_next_free_vgpr 131
		.amdhsa_next_free_sgpr 21
		.amdhsa_reserve_vcc 1
		.amdhsa_reserve_flat_scratch 0
		.amdhsa_float_round_mode_32 0
		.amdhsa_float_round_mode_16_64 0
		.amdhsa_float_denorm_mode_32 3
		.amdhsa_float_denorm_mode_16_64 3
		.amdhsa_dx10_clamp 1
		.amdhsa_ieee_mode 1
		.amdhsa_fp16_overflow 0
		.amdhsa_workgroup_processor_mode 1
		.amdhsa_memory_ordered 1
		.amdhsa_forward_progress 0
		.amdhsa_shared_vgpr_count 0
		.amdhsa_exception_fp_ieee_invalid_op 0
		.amdhsa_exception_fp_denorm_src 0
		.amdhsa_exception_fp_ieee_div_zero 0
		.amdhsa_exception_fp_ieee_overflow 0
		.amdhsa_exception_fp_ieee_underflow 0
		.amdhsa_exception_fp_ieee_inexact 0
		.amdhsa_exception_int_div_zero 0
	.end_amdhsa_kernel
	.text
.Lfunc_end0:
	.size	fft_rtc_fwd_len1232_factors_2_2_2_2_11_7_wgs_176_tpt_176_halfLds_sp_ip_CI_unitstride_sbrr_R2C_dirReg, .Lfunc_end0-fft_rtc_fwd_len1232_factors_2_2_2_2_11_7_wgs_176_tpt_176_halfLds_sp_ip_CI_unitstride_sbrr_R2C_dirReg
                                        ; -- End function
	.section	.AMDGPU.csdata,"",@progbits
; Kernel info:
; codeLenInByte = 7416
; NumSgprs: 23
; NumVgprs: 131
; ScratchSize: 0
; MemoryBound: 0
; FloatMode: 240
; IeeeMode: 1
; LDSByteSize: 0 bytes/workgroup (compile time only)
; SGPRBlocks: 2
; VGPRBlocks: 16
; NumSGPRsForWavesPerEU: 23
; NumVGPRsForWavesPerEU: 131
; Occupancy: 7
; WaveLimiterHint : 1
; COMPUTE_PGM_RSRC2:SCRATCH_EN: 0
; COMPUTE_PGM_RSRC2:USER_SGPR: 6
; COMPUTE_PGM_RSRC2:TRAP_HANDLER: 0
; COMPUTE_PGM_RSRC2:TGID_X_EN: 1
; COMPUTE_PGM_RSRC2:TGID_Y_EN: 0
; COMPUTE_PGM_RSRC2:TGID_Z_EN: 0
; COMPUTE_PGM_RSRC2:TIDIG_COMP_CNT: 0
	.text
	.p2alignl 6, 3214868480
	.fill 48, 4, 3214868480
	.type	__hip_cuid_a9799d2a6d749743,@object ; @__hip_cuid_a9799d2a6d749743
	.section	.bss,"aw",@nobits
	.globl	__hip_cuid_a9799d2a6d749743
__hip_cuid_a9799d2a6d749743:
	.byte	0                               ; 0x0
	.size	__hip_cuid_a9799d2a6d749743, 1

	.ident	"AMD clang version 19.0.0git (https://github.com/RadeonOpenCompute/llvm-project roc-6.4.0 25133 c7fe45cf4b819c5991fe208aaa96edf142730f1d)"
	.section	".note.GNU-stack","",@progbits
	.addrsig
	.addrsig_sym __hip_cuid_a9799d2a6d749743
	.amdgpu_metadata
---
amdhsa.kernels:
  - .args:
      - .actual_access:  read_only
        .address_space:  global
        .offset:         0
        .size:           8
        .value_kind:     global_buffer
      - .offset:         8
        .size:           8
        .value_kind:     by_value
      - .actual_access:  read_only
        .address_space:  global
        .offset:         16
        .size:           8
        .value_kind:     global_buffer
      - .actual_access:  read_only
        .address_space:  global
        .offset:         24
        .size:           8
        .value_kind:     global_buffer
      - .offset:         32
        .size:           8
        .value_kind:     by_value
      - .actual_access:  read_only
        .address_space:  global
        .offset:         40
        .size:           8
        .value_kind:     global_buffer
      - .actual_access:  read_only
        .address_space:  global
        .offset:         48
        .size:           8
        .value_kind:     global_buffer
      - .offset:         56
        .size:           4
        .value_kind:     by_value
      - .actual_access:  read_only
        .address_space:  global
        .offset:         64
        .size:           8
        .value_kind:     global_buffer
      - .actual_access:  read_only
        .address_space:  global
        .offset:         72
        .size:           8
        .value_kind:     global_buffer
      - .address_space:  global
        .offset:         80
        .size:           8
        .value_kind:     global_buffer
    .group_segment_fixed_size: 0
    .kernarg_segment_align: 8
    .kernarg_segment_size: 88
    .language:       OpenCL C
    .language_version:
      - 2
      - 0
    .max_flat_workgroup_size: 176
    .name:           fft_rtc_fwd_len1232_factors_2_2_2_2_11_7_wgs_176_tpt_176_halfLds_sp_ip_CI_unitstride_sbrr_R2C_dirReg
    .private_segment_fixed_size: 0
    .sgpr_count:     23
    .sgpr_spill_count: 0
    .symbol:         fft_rtc_fwd_len1232_factors_2_2_2_2_11_7_wgs_176_tpt_176_halfLds_sp_ip_CI_unitstride_sbrr_R2C_dirReg.kd
    .uniform_work_group_size: 1
    .uses_dynamic_stack: false
    .vgpr_count:     131
    .vgpr_spill_count: 0
    .wavefront_size: 32
    .workgroup_processor_mode: 1
amdhsa.target:   amdgcn-amd-amdhsa--gfx1030
amdhsa.version:
  - 1
  - 2
...

	.end_amdgpu_metadata
